;; amdgpu-corpus repo=FlagOpen/FlagGems kind=triton arch=gfx950 opt=O3 lang=triton
	.amdgcn_target "amdgcn-amd-amdhsa--gfx950"
	.amdhsa_code_object_version 5
	.text
	.globl	apply_rotary_pos_emb_inplace_kernel ; -- Begin function apply_rotary_pos_emb_inplace_kernel
	.p2align	8
	.type	apply_rotary_pos_emb_inplace_kernel,@function
apply_rotary_pos_emb_inplace_kernel:    ; @apply_rotary_pos_emb_inplace_kernel
.Lfunc_begin0:
	.cfi_sections .debug_frame
	.cfi_startproc
; %bb.7:
	.file	1 "/root/src/amdgpu-assembly/repos/FlagOpen__FlagGems/triton_aot_kernels" "rotary_embedding_aot.py"
	.loc	1 95 0 prologue_end             ; rotary_embedding_aot.py:95:0
	s_load_dwordx2 s[2:3], s[0:1], 0x0
	s_load_dwordx8 s[4:11], s[0:1], 0x8
	s_load_dwordx4 s[12:15], s[0:1], 0x28
	s_waitcnt lgkmcnt(0)
	s_branch .LBB0_0
	.loc	1 0 0 is_stmt 0                 ; :0:0
.Ltmp0:
	.p2align	8
; %bb.8:
.LBB0_0:
	s_mov_b32 s18, s13
	s_load_dword s13, s[0:1], 0x48
	s_load_dwordx4 s[20:23], s[0:1], 0x38
.Ltmp1:
	.loc	1 131 33 is_stmt 1              ; rotary_embedding_aot.py:131:33
	v_and_b32_e32 v1, 63, v0
	s_mov_b32 s27, 0x27000
	s_mov_b32 s26, 0x7ffffffe
	s_waitcnt lgkmcnt(0)
	s_ashr_i32 s17, s13, 31
	.loc	1 123 26                        ; rotary_embedding_aot.py:123:26
	s_mul_i32 s0, s22, s16
	.loc	1 123 19 is_stmt 0              ; rotary_embedding_aot.py:123:19
	s_ashr_i32 s1, s0, 31
	s_ashr_i32 s19, s23, 31
	s_lshl_b64 s[0:1], s[0:1], 3
	s_add_u32 s0, s10, s0
	s_addc_u32 s1, s11, s1
	.loc	1 124 25 is_stmt 1              ; rotary_embedding_aot.py:124:25
	s_load_dwordx2 s[0:1], s[0:1], 0x0
	.loc	1 143 22                        ; rotary_embedding_aot.py:143:22
	v_lshlrev_b32_e32 v2, 1, v1
	.loc	1 125 24                        ; rotary_embedding_aot.py:125:24
	s_waitcnt lgkmcnt(0)
	s_mul_i32 s10, s0, s19
	s_mul_hi_u32 s11, s0, s23
	s_add_i32 s10, s11, s10
	s_mul_i32 s11, s1, s23
	s_add_i32 s11, s10, s11
	s_mul_i32 s10, s0, s23
	.loc	1 125 15 is_stmt 0              ; rotary_embedding_aot.py:125:15
	s_lshl_b64 s[10:11], s[10:11], 1
	s_add_u32 s24, s6, s10
	s_addc_u32 s6, s7, s11
	.loc	1 126 24 is_stmt 1              ; rotary_embedding_aot.py:126:24
	s_mul_i32 s7, s0, s17
	s_mul_hi_u32 s10, s0, s13
	s_add_i32 s7, s10, s7
	s_mul_i32 s1, s1, s13
	s_add_i32 s1, s7, s1
	s_mul_i32 s0, s0, s13
	.loc	1 126 15 is_stmt 0              ; rotary_embedding_aot.py:126:15
	s_lshl_b64 s[0:1], s[0:1], 1
	s_add_u32 s8, s8, s0
	s_addc_u32 s0, s9, s1
	.loc	1 144 22 is_stmt 1              ; rotary_embedding_aot.py:144:22
	s_and_b32 s9, s0, 0xffff
	s_mov_b32 s10, s26
	s_mov_b32 s11, s27
	buffer_load_ushort v6, v2, s[8:11], 0 offen
	.loc	1 143 22                        ; rotary_embedding_aot.py:143:22
	s_and_b32 s25, s6, 0xffff
	buffer_load_ushort v7, v2, s[24:27], 0 offen
	.loc	1 147 20                        ; rotary_embedding_aot.py:147:20
	s_mul_i32 s0, s12, s16
	.loc	1 147 13 is_stmt 0              ; rotary_embedding_aot.py:147:13
	s_ashr_i32 s1, s0, 31
	.loc	1 167 39 is_stmt 1              ; rotary_embedding_aot.py:167:39
	v_readfirstlane_b32 s6, v0
	.loc	1 147 13                        ; rotary_embedding_aot.py:147:13
	s_lshl_b64 s[0:1], s[0:1], 1
	s_add_u32 s2, s2, s0
	.loc	1 131 33                        ; rotary_embedding_aot.py:131:33
	v_and_or_b32 v2, s6, 64, v1
	.loc	1 141 41                        ; rotary_embedding_aot.py:141:41
	v_bitop3_b32 v3, s6, 64, v1 bitop3:0x26
	.loc	1 147 13                        ; rotary_embedding_aot.py:147:13
	s_addc_u32 s3, s3, s1
	s_bitcmp0_b32 s6, 7
	s_cselect_b64 s[0:1], -1, 0
	s_ashr_i32 s19, s18, 31
	.loc	1 145 39                        ; rotary_embedding_aot.py:145:39
	v_cmp_gt_u32_e32 vcc, 64, v3
	s_mov_b32 s8, 0
	s_mov_b32 s9, 32
	.loc	1 151 61                        ; rotary_embedding_aot.py:151:61
	v_mul_lo_u32 v4, v3, s14
	.loc	1 149 26                        ; rotary_embedding_aot.py:149:26
	v_mul_lo_u32 v5, s14, v2
	s_lshl_b32 s10, s18, 2
	s_lshl_b64 s[6:7], s[18:19], 1
	.loc	1 144 72                        ; rotary_embedding_aot.py:144:72
	s_waitcnt vmcnt(1)
	v_cvt_f32_f16_e32 v1, v6
	v_cndmask_b32_e64 v6, 0, 1, s[0:1]
	.loc	1 143 72                        ; rotary_embedding_aot.py:143:72
	s_waitcnt vmcnt(0)
	v_cvt_f32_f16_e32 v0, v7
	v_cmp_ne_u32_e64 s[0:1], 1, v6
	.loc	1 145 60                        ; rotary_embedding_aot.py:145:60
	v_sub_f32_e32 v7, 0, v1
	.loc	1 145 59 is_stmt 0              ; rotary_embedding_aot.py:145:59
	v_cndmask_b32_e32 v1, v7, v1, vcc
	s_branch .LBB0_2
.LBB0_1:                                ; %.critedge12
                                        ;   in Loop: Header=BB0_2 Depth=1
	.loc	1 149 26 is_stmt 1              ; rotary_embedding_aot.py:149:26
	s_add_i32 s9, s9, -4
	s_add_i32 s8, s8, s10
	s_cmp_lg_u32 s9, 0
	s_cbranch_scc0 .LBB0_4
.LBB0_2:                                ; =>This Inner Loop Header: Depth=1
	.loc	1 156 39                        ; rotary_embedding_aot.py:156:39
	s_and_b64 vcc, exec, s[0:1]
	s_cbranch_vccnz .LBB0_1
; %bb.3:                                ; %.critedge10
                                        ;   in Loop: Header=BB0_2 Depth=1
	.loc	1 155 16                        ; rotary_embedding_aot.py:155:16
	v_add_u32_e32 v6, s8, v4
	.loc	1 154 36                        ; rotary_embedding_aot.py:154:36
	v_ashrrev_i32_e32 v7, 31, v6
	v_lshl_add_u64 v[6:7], v[6:7], 1, s[2:3]
	.loc	1 154 28 is_stmt 0              ; rotary_embedding_aot.py:154:28
	global_load_ushort v10, v[6:7], off
	.loc	1 153 28 is_stmt 1              ; rotary_embedding_aot.py:153:28
	v_add_u32_e32 v8, s8, v5
	v_ashrrev_i32_e32 v9, 31, v8
	v_lshl_add_u64 v[8:9], v[8:9], 1, s[2:3]
	.loc	1 153 20 is_stmt 0              ; rotary_embedding_aot.py:153:20
	global_load_ushort v11, v[8:9], off
	.loc	1 154 36 is_stmt 1              ; rotary_embedding_aot.py:154:36
	v_lshl_add_u64 v[6:7], v[6:7], 0, s[6:7]
	.loc	1 155 34                        ; rotary_embedding_aot.py:155:34
	s_waitcnt vmcnt(1)
	v_cvt_f32_f16_e32 v10, v10
	v_mul_f32_e32 v10, v1, v10
	.loc	1 156 39                        ; rotary_embedding_aot.py:156:39
	s_waitcnt vmcnt(0)
	v_fma_mixlo_f16 v10, v0, v11, v10 op_sel_hi:[0,1,0]
	global_store_short v[8:9], v10, off
	.loc	1 154 28                        ; rotary_embedding_aot.py:154:28
	global_load_ushort v10, v[6:7], off
	.loc	1 153 28                        ; rotary_embedding_aot.py:153:28
	v_lshl_add_u64 v[8:9], v[8:9], 0, s[6:7]
	.loc	1 153 20 is_stmt 0              ; rotary_embedding_aot.py:153:20
	global_load_ushort v11, v[8:9], off
	.loc	1 154 36 is_stmt 1              ; rotary_embedding_aot.py:154:36
	v_lshl_add_u64 v[6:7], v[6:7], 0, s[6:7]
	.loc	1 155 34                        ; rotary_embedding_aot.py:155:34
	s_waitcnt vmcnt(1)
	v_cvt_f32_f16_e32 v10, v10
	v_mul_f32_e32 v10, v1, v10
	.loc	1 156 39                        ; rotary_embedding_aot.py:156:39
	s_waitcnt vmcnt(0)
	v_fma_mixlo_f16 v10, v0, v11, v10 op_sel_hi:[0,1,0]
	global_store_short v[8:9], v10, off
	.loc	1 154 28                        ; rotary_embedding_aot.py:154:28
	global_load_ushort v10, v[6:7], off
	.loc	1 153 28                        ; rotary_embedding_aot.py:153:28
	;; [unrolled: 16-line block ×3, first 2 shown]
	v_lshl_add_u64 v[6:7], v[8:9], 0, s[6:7]
	.loc	1 153 20 is_stmt 0              ; rotary_embedding_aot.py:153:20
	global_load_ushort v8, v[6:7], off
	.loc	1 155 34 is_stmt 1              ; rotary_embedding_aot.py:155:34
	s_waitcnt vmcnt(1)
	v_cvt_f32_f16_e32 v9, v10
	v_mul_f32_e32 v9, v1, v9
	.loc	1 156 39                        ; rotary_embedding_aot.py:156:39
	s_waitcnt vmcnt(0)
	v_fma_mixlo_f16 v8, v0, v8, v9 op_sel_hi:[0,1,0]
	global_store_short v[6:7], v8, off
	s_branch .LBB0_1
.LBB0_4:
	.loc	1 167 39                        ; rotary_embedding_aot.py:167:39
	s_and_b64 vcc, exec, s[0:1]
	s_cbranch_vccnz .LBB0_6
; %bb.5:                                ; %.critedge
	.loc	1 158 20                        ; rotary_embedding_aot.py:158:20
	s_mul_i32 s0, s15, s16
	.loc	1 158 13 is_stmt 0              ; rotary_embedding_aot.py:158:13
	s_ashr_i32 s1, s0, 31
	s_lshl_b64 s[0:1], s[0:1], 1
	.loc	1 162 61 is_stmt 1              ; rotary_embedding_aot.py:162:61
	v_mul_lo_u32 v4, v3, s21
	.loc	1 158 13                        ; rotary_embedding_aot.py:158:13
	s_add_u32 s0, s4, s0
	s_addc_u32 s1, s5, s1
	.loc	1 165 36                        ; rotary_embedding_aot.py:165:36
	v_ashrrev_i32_e32 v5, 31, v4
	v_lshl_add_u64 v[4:5], v[4:5], 1, s[0:1]
	.loc	1 165 28 is_stmt 0              ; rotary_embedding_aot.py:165:28
	global_load_ushort v6, v[4:5], off
	.loc	1 161 61 is_stmt 1              ; rotary_embedding_aot.py:161:61
	v_mul_lo_u32 v2, v2, s21
	.loc	1 164 28                        ; rotary_embedding_aot.py:164:28
	v_ashrrev_i32_e32 v3, 31, v2
	v_lshl_add_u64 v[2:3], v[2:3], 1, s[0:1]
	.loc	1 164 20 is_stmt 0              ; rotary_embedding_aot.py:164:20
	global_load_ushort v7, v[2:3], off
	.loc	1 164 28                        ; rotary_embedding_aot.py:164:28
	s_ashr_i32 s21, s20, 31
	s_lshl_b64 s[0:1], s[20:21], 1
	.loc	1 165 36 is_stmt 1              ; rotary_embedding_aot.py:165:36
	v_lshl_add_u64 v[4:5], v[4:5], 0, s[0:1]
	.loc	1 166 34                        ; rotary_embedding_aot.py:166:34
	s_waitcnt vmcnt(1)
	v_cvt_f32_f16_e32 v6, v6
	v_mul_f32_e32 v6, v1, v6
	.loc	1 167 39                        ; rotary_embedding_aot.py:167:39
	s_waitcnt vmcnt(0)
	v_fma_mixlo_f16 v6, v0, v7, v6 op_sel_hi:[0,1,0]
	global_store_short v[2:3], v6, off
	.loc	1 165 28                        ; rotary_embedding_aot.py:165:28
	global_load_ushort v6, v[4:5], off
	.loc	1 164 28                        ; rotary_embedding_aot.py:164:28
	v_lshl_add_u64 v[2:3], v[2:3], 0, s[0:1]
	.loc	1 164 20 is_stmt 0              ; rotary_embedding_aot.py:164:20
	global_load_ushort v7, v[2:3], off
	.loc	1 165 36 is_stmt 1              ; rotary_embedding_aot.py:165:36
	v_lshl_add_u64 v[4:5], v[4:5], 0, s[0:1]
	.loc	1 166 34                        ; rotary_embedding_aot.py:166:34
	s_waitcnt vmcnt(1)
	v_cvt_f32_f16_e32 v6, v6
	v_mul_f32_e32 v6, v1, v6
	.loc	1 167 39                        ; rotary_embedding_aot.py:167:39
	s_waitcnt vmcnt(0)
	v_fma_mixlo_f16 v6, v0, v7, v6 op_sel_hi:[0,1,0]
	global_store_short v[2:3], v6, off
	.loc	1 165 28                        ; rotary_embedding_aot.py:165:28
	global_load_ushort v6, v[4:5], off
	.loc	1 164 28                        ; rotary_embedding_aot.py:164:28
	v_lshl_add_u64 v[2:3], v[2:3], 0, s[0:1]
	.loc	1 164 20 is_stmt 0              ; rotary_embedding_aot.py:164:20
	global_load_ushort v7, v[2:3], off
	;; [unrolled: 16-line block ×7, first 2 shown]
	.loc	1 166 34 is_stmt 1              ; rotary_embedding_aot.py:166:34
	s_waitcnt vmcnt(1)
	v_cvt_f32_f16_e32 v4, v4
	v_mul_f32_e32 v1, v1, v4
	.loc	1 167 39                        ; rotary_embedding_aot.py:167:39
	s_waitcnt vmcnt(0)
	v_fma_mixlo_f16 v0, v0, v5, v1 op_sel_hi:[0,1,0]
	global_store_short v[2:3], v0, off
.LBB0_6:                                ; %.critedge8
	.loc	1 160 4                         ; rotary_embedding_aot.py:160:4
	s_endpgm
.Ltmp2:
	.section	.rodata,"a",@progbits
	.p2align	6, 0x0
	.amdhsa_kernel apply_rotary_pos_emb_inplace_kernel
		.amdhsa_group_segment_fixed_size 0
		.amdhsa_private_segment_fixed_size 0
		.amdhsa_kernarg_size 96
		.amdhsa_user_sgpr_count 16
		.amdhsa_user_sgpr_dispatch_ptr 0
		.amdhsa_user_sgpr_queue_ptr 0
		.amdhsa_user_sgpr_kernarg_segment_ptr 1
		.amdhsa_user_sgpr_dispatch_id 0
		.amdhsa_user_sgpr_kernarg_preload_length 14
		.amdhsa_user_sgpr_kernarg_preload_offset 0
		.amdhsa_user_sgpr_private_segment_size 0
		.amdhsa_uses_dynamic_stack 0
		.amdhsa_enable_private_segment 0
		.amdhsa_system_sgpr_workgroup_id_x 1
		.amdhsa_system_sgpr_workgroup_id_y 0
		.amdhsa_system_sgpr_workgroup_id_z 0
		.amdhsa_system_sgpr_workgroup_info 0
		.amdhsa_system_vgpr_workitem_id 0
		.amdhsa_next_free_vgpr 12
		.amdhsa_next_free_sgpr 28
		.amdhsa_accum_offset 12
		.amdhsa_reserve_vcc 1
		.amdhsa_reserve_xnack_mask 1
		.amdhsa_float_round_mode_32 0
		.amdhsa_float_round_mode_16_64 0
		.amdhsa_float_denorm_mode_32 3
		.amdhsa_float_denorm_mode_16_64 3
		.amdhsa_dx10_clamp 1
		.amdhsa_ieee_mode 1
		.amdhsa_fp16_overflow 0
		.amdhsa_tg_split 0
		.amdhsa_exception_fp_ieee_invalid_op 0
		.amdhsa_exception_fp_denorm_src 0
		.amdhsa_exception_fp_ieee_div_zero 0
		.amdhsa_exception_fp_ieee_overflow 0
		.amdhsa_exception_fp_ieee_underflow 0
		.amdhsa_exception_fp_ieee_inexact 0
		.amdhsa_exception_int_div_zero 0
	.end_amdhsa_kernel
	.text
.Lfunc_end0:
	.size	apply_rotary_pos_emb_inplace_kernel, .Lfunc_end0-apply_rotary_pos_emb_inplace_kernel
	.cfi_endproc
                                        ; -- End function
	.set apply_rotary_pos_emb_inplace_kernel.num_vgpr, 12
	.set apply_rotary_pos_emb_inplace_kernel.num_agpr, 0
	.set apply_rotary_pos_emb_inplace_kernel.numbered_sgpr, 28
	.set apply_rotary_pos_emb_inplace_kernel.num_named_barrier, 0
	.set apply_rotary_pos_emb_inplace_kernel.private_seg_size, 0
	.set apply_rotary_pos_emb_inplace_kernel.uses_vcc, 1
	.set apply_rotary_pos_emb_inplace_kernel.uses_flat_scratch, 0
	.set apply_rotary_pos_emb_inplace_kernel.has_dyn_sized_stack, 0
	.set apply_rotary_pos_emb_inplace_kernel.has_recursion, 0
	.set apply_rotary_pos_emb_inplace_kernel.has_indirect_call, 0
	.section	.AMDGPU.csdata,"",@progbits
; Kernel info:
; codeLenInByte = 1464
; TotalNumSgprs: 34
; NumVgprs: 12
; NumAgprs: 0
; TotalNumVgprs: 12
; ScratchSize: 0
; MemoryBound: 0
; FloatMode: 240
; IeeeMode: 1
; LDSByteSize: 0 bytes/workgroup (compile time only)
; SGPRBlocks: 4
; VGPRBlocks: 1
; NumSGPRsForWavesPerEU: 34
; NumVGPRsForWavesPerEU: 12
; AccumOffset: 12
; Occupancy: 8
; WaveLimiterHint : 0
; COMPUTE_PGM_RSRC2:SCRATCH_EN: 0
; COMPUTE_PGM_RSRC2:USER_SGPR: 16
; COMPUTE_PGM_RSRC2:TRAP_HANDLER: 0
; COMPUTE_PGM_RSRC2:TGID_X_EN: 1
; COMPUTE_PGM_RSRC2:TGID_Y_EN: 0
; COMPUTE_PGM_RSRC2:TGID_Z_EN: 0
; COMPUTE_PGM_RSRC2:TIDIG_COMP_CNT: 0
; COMPUTE_PGM_RSRC3_GFX90A:ACCUM_OFFSET: 2
; COMPUTE_PGM_RSRC3_GFX90A:TG_SPLIT: 0
	.text
	.p2alignl 6, 3212836864
	.fill 256, 4, 3212836864
	.section	.AMDGPU.gpr_maximums,"",@progbits
	.set amdgpu.max_num_vgpr, 0
	.set amdgpu.max_num_agpr, 0
	.set amdgpu.max_num_sgpr, 0
	.set amdgpu.max_num_named_barrier, 0
	.text
	.section	.debug_abbrev,"",@progbits
	.byte	1                               ; Abbreviation Code
	.byte	17                              ; DW_TAG_compile_unit
	.byte	0                               ; DW_CHILDREN_no
	.byte	37                              ; DW_AT_producer
	.byte	14                              ; DW_FORM_strp
	.byte	19                              ; DW_AT_language
	.byte	5                               ; DW_FORM_data2
	.byte	3                               ; DW_AT_name
	.byte	14                              ; DW_FORM_strp
	.byte	16                              ; DW_AT_stmt_list
	.byte	23                              ; DW_FORM_sec_offset
	.byte	27                              ; DW_AT_comp_dir
	.byte	14                              ; DW_FORM_strp
	.byte	17                              ; DW_AT_low_pc
	.byte	1                               ; DW_FORM_addr
	.byte	18                              ; DW_AT_high_pc
	.byte	6                               ; DW_FORM_data4
	.byte	0                               ; EOM(1)
	.byte	0                               ; EOM(2)
	;; [unrolled: 1-line block ×3, first 2 shown]
	.section	.debug_info,"",@progbits
.Lcu_begin0:
	.long	.Ldebug_info_end0-.Ldebug_info_start0 ; Length of Unit
.Ldebug_info_start0:
	.short	4                               ; DWARF version number
	.long	.debug_abbrev                   ; Offset Into Abbrev. Section
	.byte	8                               ; Address Size (in bytes)
	.byte	1                               ; Abbrev [1] 0xb:0x1f DW_TAG_compile_unit
	.long	.Linfo_string0                  ; DW_AT_producer
	.short	2                               ; DW_AT_language
	.long	.Linfo_string1                  ; DW_AT_name
	.long	.Lline_table_start0             ; DW_AT_stmt_list
	.long	.Linfo_string2                  ; DW_AT_comp_dir
	.quad	.Lfunc_begin0                   ; DW_AT_low_pc
	.long	.Lfunc_end0-.Lfunc_begin0       ; DW_AT_high_pc
.Ldebug_info_end0:
	.section	.debug_str,"MS",@progbits,1
.Linfo_string0:
	.asciz	"triton"                        ; string offset=0
.Linfo_string1:
	.asciz	"rotary_embedding_aot.py"       ; string offset=7
.Linfo_string2:
	.asciz	"/root/src/amdgpu-assembly/repos/FlagOpen__FlagGems/triton_aot_kernels" ; string offset=31
	.section	".note.GNU-stack","",@progbits
	.amdgpu_metadata
---
amdhsa.kernels:
  - .agpr_count:     0
    .args:
      - .address_space:  global
        .offset:         0
        .size:           8
        .value_kind:     global_buffer
      - .address_space:  global
        .offset:         8
        .size:           8
        .value_kind:     global_buffer
      - .address_space:  global
        .offset:         16
        .size:           8
        .value_kind:     global_buffer
      - .address_space:  global
        .offset:         24
        .size:           8
        .value_kind:     global_buffer
      - .address_space:  global
        .offset:         32
        .size:           8
        .value_kind:     global_buffer
      - .offset:         40
        .size:           4
        .value_kind:     by_value
      - .offset:         44
        .size:           4
        .value_kind:     by_value
      - .offset:         48
        .size:           4
        .value_kind:     by_value
      - .offset:         52
        .size:           4
        .value_kind:     by_value
      - .offset:         56
        .size:           4
        .value_kind:     by_value
      - .offset:         60
        .size:           4
        .value_kind:     by_value
      - .offset:         64
        .size:           4
        .value_kind:     by_value
      - .offset:         68
        .size:           4
        .value_kind:     by_value
      - .offset:         72
        .size:           4
        .value_kind:     by_value
      - .offset:         76
        .size:           4
        .value_kind:     by_value
      - .address_space:  global
        .offset:         80
        .size:           8
        .value_kind:     global_buffer
      - .address_space:  global
        .offset:         88
        .size:           8
        .value_kind:     global_buffer
    .group_segment_fixed_size: 0
    .kernarg_segment_align: 8
    .kernarg_segment_size: 96
    .max_flat_workgroup_size: 256
    .name:           apply_rotary_pos_emb_inplace_kernel
    .private_segment_fixed_size: 0
    .sgpr_count:     34
    .sgpr_spill_count: 0
    .symbol:         apply_rotary_pos_emb_inplace_kernel.kd
    .uniform_work_group_size: 1
    .uses_dynamic_stack: false
    .vgpr_count:     12
    .vgpr_spill_count: 0
    .wavefront_size: 64
amdhsa.target:   amdgcn-amd-amdhsa--gfx950
amdhsa.version:
  - 1
  - 2
...

	.end_amdgpu_metadata
	.section	.debug_line,"",@progbits
.Lline_table_start0:
